;; amdgpu-corpus repo=ROCm/hip-tests kind=compiled arch=gfx950 opt=O3
	.amdgcn_target "amdgcn-amd-amdhsa--gfx950"
	.amdhsa_code_object_version 6
	.text
	.protected	_Z17testOperationsGPUPfS_Pb ; -- Begin function _Z17testOperationsGPUPfS_Pb
	.globl	_Z17testOperationsGPUPfS_Pb
	.p2align	8
	.type	_Z17testOperationsGPUPfS_Pb,@function
_Z17testOperationsGPUPfS_Pb:            ; @_Z17testOperationsGPUPfS_Pb
; %bb.0:
	s_movk_i32 s2, 0x65
	v_cmp_gt_u32_e32 vcc, s2, v0
	s_and_saveexec_b64 s[2:3], vcc
	s_cbranch_execz .LBB0_38
; %bb.1:
	s_load_dwordx4 s[4:7], s[0:1], 0x0
	v_lshlrev_b32_e32 v2, 2, v0
	s_mov_b32 s2, 0x7f800000
	s_waitcnt lgkmcnt(0)
	global_load_dword v0, v2, s[4:5]
	global_load_dword v1, v2, s[6:7]
	s_waitcnt vmcnt(1)
	v_and_b32_e32 v2, 0x7f800000, v0
	v_cmp_ne_u32_e32 vcc, s2, v2
                                        ; implicit-def: $vgpr2
	s_and_saveexec_b64 s[2:3], vcc
	s_xor_b64 s[2:3], exec, s[2:3]
; %bb.2:
	v_bfe_u32 v2, v0, 16, 1
	s_movk_i32 s4, 0x7fff
	v_add3_u32 v2, v0, v2, s4
; %bb.3:
	s_andn2_saveexec_b64 s[2:3], s[2:3]
; %bb.4:
	v_mov_b32_e32 v2, 0
	v_or_b32_e32 v3, 0x10000, v0
	v_cmp_eq_u32_sdwa vcc, v0, v2 src0_sel:WORD_0 src1_sel:DWORD
	s_nop 1
	v_cndmask_b32_e32 v2, v3, v0, vcc
; %bb.5:
	s_or_b64 exec, exec, s[2:3]
	s_mov_b32 s2, 0x7f800000
	s_waitcnt vmcnt(0)
	v_and_b32_e32 v3, 0x7f800000, v1
	v_cmp_ne_u32_e32 vcc, s2, v3
                                        ; implicit-def: $vgpr3
	s_and_saveexec_b64 s[2:3], vcc
	s_xor_b64 s[2:3], exec, s[2:3]
; %bb.6:
	v_bfe_u32 v3, v1, 16, 1
	s_movk_i32 s4, 0x7fff
	v_add3_u32 v3, v1, v3, s4
; %bb.7:
	s_andn2_saveexec_b64 s[2:3], s[2:3]
; %bb.8:
	v_mov_b32_e32 v3, 0
	v_or_b32_e32 v4, 0x10000, v1
	v_cmp_eq_u32_sdwa vcc, v1, v3 src0_sel:WORD_0 src1_sel:DWORD
	s_nop 1
	v_cndmask_b32_e32 v3, v4, v1, vcc
; %bb.9:
	s_or_b64 exec, exec, s[2:3]
	v_and_b32_e32 v3, 0xffff0000, v3
	v_and_b32_e32 v2, 0xffff0000, v2
	v_mov_b32_e32 v6, v3
	v_pk_add_f32 v[4:5], v[6:7], v[2:3]
	s_mov_b32 s2, 0x7f800000
	v_and_b32_e32 v5, 0x7f800000, v4
	v_cmp_ne_u32_e32 vcc, s2, v5
                                        ; implicit-def: $vgpr5
	s_and_saveexec_b64 s[2:3], vcc
	s_xor_b64 s[2:3], exec, s[2:3]
; %bb.10:
	v_bfe_u32 v5, v4, 16, 1
	s_movk_i32 s4, 0x7fff
	v_add3_u32 v5, v4, v5, s4
; %bb.11:
	s_andn2_saveexec_b64 s[2:3], s[2:3]
; %bb.12:
	v_mov_b32_e32 v5, 0
	v_or_b32_e32 v7, 0x10000, v4
	v_cmp_eq_u32_sdwa vcc, v4, v5 src0_sel:WORD_0 src1_sel:DWORD
	s_nop 1
	v_cndmask_b32_e32 v5, v7, v4, vcc
; %bb.13:
	s_or_b64 exec, exec, s[2:3]
	v_pk_mul_f32 v[6:7], v[6:7], v[2:3]
	s_mov_b32 s2, 0x7f800000
	v_and_b32_e32 v7, 0x7f800000, v6
	v_cmp_ne_u32_e32 vcc, s2, v7
                                        ; implicit-def: $vgpr8
	s_and_saveexec_b64 s[2:3], vcc
	s_xor_b64 s[2:3], exec, s[2:3]
; %bb.14:
	v_bfe_u32 v7, v6, 16, 1
	s_movk_i32 s4, 0x7fff
	v_add3_u32 v8, v6, v7, s4
; %bb.15:
	s_andn2_saveexec_b64 s[2:3], s[2:3]
; %bb.16:
	v_mov_b32_e32 v7, 0
	v_or_b32_e32 v8, 0x10000, v6
	v_cmp_eq_u32_sdwa vcc, v6, v7 src0_sel:WORD_0 src1_sel:DWORD
	s_nop 1
	v_cndmask_b32_e32 v8, v8, v6, vcc
; %bb.17:
	s_or_b64 exec, exec, s[2:3]
	v_div_scale_f32 v7, s[2:3], v3, v3, v2
	v_rcp_f32_e32 v9, v7
	v_div_scale_f32 v10, vcc, v2, v3, v2
	s_mov_b32 s2, 0x7f800000
	v_fma_f32 v11, -v7, v9, 1.0
	v_fmac_f32_e32 v9, v11, v9
	v_mul_f32_e32 v11, v10, v9
	v_fma_f32 v12, -v7, v11, v10
	v_fmac_f32_e32 v11, v12, v9
	v_fma_f32 v7, -v7, v11, v10
	v_div_fmas_f32 v7, v7, v9, v11
	v_div_fixup_f32 v7, v7, v3, v2
	v_and_b32_e32 v9, 0x7f800000, v7
	v_cmp_ne_u32_e32 vcc, s2, v9
                                        ; implicit-def: $vgpr9
	s_and_saveexec_b64 s[2:3], vcc
	s_xor_b64 s[2:3], exec, s[2:3]
; %bb.18:
	v_bfe_u32 v9, v7, 16, 1
	s_movk_i32 s4, 0x7fff
	v_add3_u32 v9, v7, v9, s4
; %bb.19:
	s_andn2_saveexec_b64 s[2:3], s[2:3]
; %bb.20:
	v_mov_b32_e32 v9, 0
	v_or_b32_e32 v10, 0x10000, v7
	v_cmp_eq_u32_sdwa vcc, v7, v9 src0_sel:WORD_0 src1_sel:DWORD
	s_nop 1
	v_cndmask_b32_e32 v9, v10, v7, vcc
; %bb.21:
	s_or_b64 exec, exec, s[2:3]
	v_add_f32_e32 v10, 1.0, v2
	s_mov_b32 s2, 0x7f800000
	v_and_b32_e32 v11, 0x7f800000, v10
	v_cmp_ne_u32_e32 vcc, s2, v11
                                        ; implicit-def: $vgpr11
	s_and_saveexec_b64 s[2:3], vcc
	s_xor_b64 s[2:3], exec, s[2:3]
; %bb.22:
	v_bfe_u32 v11, v10, 16, 1
	s_movk_i32 s4, 0x7fff
	v_add3_u32 v11, v10, v11, s4
                                        ; implicit-def: $vgpr10
; %bb.23:
	s_andn2_saveexec_b64 s[2:3], s[2:3]
; %bb.24:
	v_mov_b32_e32 v11, 0
	v_or_b32_e32 v12, 0x10000, v10
	v_cmp_eq_u32_sdwa vcc, v10, v11 src0_sel:WORD_0 src1_sel:DWORD
	s_nop 1
	v_cndmask_b32_e32 v11, v12, v10, vcc
; %bb.25:
	s_or_b64 exec, exec, s[2:3]
	v_and_b32_e32 v10, 0xffff0000, v11
	v_add_f32_e32 v10, -1.0, v10
	s_mov_b32 s2, 0x7f800000
	v_and_b32_e32 v11, 0x7f800000, v10
	v_cmp_ne_u32_e32 vcc, s2, v11
                                        ; implicit-def: $vgpr11
	s_and_saveexec_b64 s[2:3], vcc
	s_xor_b64 s[2:3], exec, s[2:3]
; %bb.26:
	v_bfe_u32 v11, v10, 16, 1
	s_movk_i32 s4, 0x7fff
	v_add3_u32 v11, v10, v11, s4
                                        ; implicit-def: $vgpr10
; %bb.27:
	s_andn2_saveexec_b64 s[2:3], s[2:3]
; %bb.28:
	v_mov_b32_e32 v11, 0
	v_or_b32_e32 v12, 0x10000, v10
	v_cmp_eq_u32_sdwa vcc, v10, v11 src0_sel:WORD_0 src1_sel:DWORD
	s_nop 1
	v_cndmask_b32_e32 v11, v12, v10, vcc
; %bb.29:
	s_or_b64 exec, exec, s[2:3]
	v_and_b32_e32 v10, 0xffff0000, v11
	v_add_f32_e32 v10, 1.0, v10
	s_mov_b32 s2, 0x7f800000
	v_and_b32_e32 v11, 0x7f800000, v10
	v_cmp_ne_u32_e32 vcc, s2, v11
                                        ; implicit-def: $vgpr11
	s_and_saveexec_b64 s[2:3], vcc
	s_xor_b64 s[2:3], exec, s[2:3]
; %bb.30:
	v_bfe_u32 v11, v10, 16, 1
	s_movk_i32 s4, 0x7fff
	v_add3_u32 v11, v10, v11, s4
                                        ; implicit-def: $vgpr10
; %bb.31:
	s_or_saveexec_b64 s[2:3], s[2:3]
	s_load_dwordx2 s[4:5], s[0:1], 0x10
	s_xor_b64 exec, exec, s[2:3]
; %bb.32:
	v_mov_b32_e32 v11, 0
	v_or_b32_e32 v12, 0x10000, v10
	v_cmp_eq_u32_sdwa vcc, v10, v11 src0_sel:WORD_0 src1_sel:DWORD
	s_nop 1
	v_cndmask_b32_e32 v11, v12, v10, vcc
; %bb.33:
	s_or_b64 exec, exec, s[2:3]
	v_and_b32_e32 v10, 0xffff0000, v11
	v_add_f32_e32 v11, -1.0, v10
	s_mov_b32 s0, 0x7f800000
	v_and_b32_e32 v10, 0x7f800000, v11
	v_cmp_ne_u32_e32 vcc, s0, v10
                                        ; implicit-def: $vgpr10
	s_and_saveexec_b64 s[0:1], vcc
	s_xor_b64 s[0:1], exec, s[0:1]
; %bb.34:
	v_bfe_u32 v10, v11, 16, 1
	s_movk_i32 s2, 0x7fff
	v_add3_u32 v10, v11, v10, s2
                                        ; implicit-def: $vgpr11
; %bb.35:
	s_andn2_saveexec_b64 s[0:1], s[0:1]
; %bb.36:
	v_mov_b32_e32 v10, 0
	v_or_b32_e32 v12, 0x10000, v11
	v_cmp_eq_u32_sdwa vcc, v11, v10 src0_sel:WORD_0 src1_sel:DWORD
	s_nop 1
	v_cndmask_b32_e32 v10, v12, v11, vcc
; %bb.37:
	s_or_b64 exec, exec, s[0:1]
	v_and_b32_e32 v10, 0xffff0000, v10
	v_sub_f32_e32 v12, v10, v2
	v_and_b32_e32 v13, 0x7fffffff, v12
	v_div_scale_f32 v14, s[0:1], v10, v10, v13
	v_rcp_f32_e32 v15, v14
	v_div_scale_f32 v13, vcc, v13, v10, v13
	v_and_b32_e32 v9, 0xffff0000, v9
	v_fma_f32 v19, -v14, v15, 1.0
	v_fmac_f32_e32 v15, v19, v15
	v_mul_f32_e32 v19, v13, v15
	v_sub_f32_e32 v9, v9, v7
	v_fma_f32 v20, -v14, v19, v13
	v_and_b32_e32 v18, 0x7fffffff, v9
	v_fmac_f32_e32 v19, v20, v15
	v_fma_f32 v13, -v14, v19, v13
	v_div_scale_f32 v14, s[0:1], v7, v7, v18
	v_rcp_f32_e32 v20, v14
	v_div_fmas_f32 v13, v13, v15, v19
	v_div_fixup_f32 v10, v13, v10, |v12|
	v_and_b32_e32 v5, 0xffff0000, v5
	v_fma_f32 v12, -v14, v20, 1.0
	v_fmac_f32_e32 v20, v12, v20
	v_div_scale_f32 v12, vcc, v18, v7, v18
	v_mul_f32_e32 v13, v12, v20
	v_sub_f32_e32 v5, v5, v4
	v_fma_f32 v15, -v14, v13, v12
	v_and_b32_e32 v17, 0x7fffffff, v5
	v_fmac_f32_e32 v13, v15, v20
	v_fma_f32 v12, -v14, v13, v12
	v_div_scale_f32 v14, s[0:1], v4, v4, v17
	v_rcp_f32_e32 v15, v14
	v_div_fmas_f32 v12, v12, v20, v13
	v_div_fixup_f32 v7, v12, v7, |v9|
	v_and_b32_e32 v8, 0xffff0000, v8
	v_fma_f32 v9, -v14, v15, 1.0
	v_fmac_f32_e32 v15, v9, v15
	v_div_scale_f32 v9, vcc, v17, v4, v17
	v_sub_f32_e32 v8, v8, v6
	v_mul_f32_e32 v12, v9, v15
	v_and_b32_e32 v16, 0x7fffffff, v8
	v_fma_f32 v13, -v14, v12, v9
	v_fmac_f32_e32 v12, v13, v15
	v_div_scale_f32 v13, s[0:1], v6, v6, v16
	v_fma_f32 v9, -v14, v12, v9
	v_rcp_f32_e32 v14, v13
	v_div_fmas_f32 v9, v9, v15, v12
	v_div_fixup_f32 v4, v9, v4, |v5|
	v_pk_add_f32 v[2:3], v[2:3], v[0:1] neg_lo:[0,1] neg_hi:[0,1]
	v_fma_f32 v5, -v13, v14, 1.0
	v_fmac_f32_e32 v14, v5, v14
	v_div_scale_f32 v5, vcc, v16, v6, v16
	v_mul_f32_e32 v9, v5, v14
	v_fma_f32 v12, -v13, v9, v5
	v_fmac_f32_e32 v9, v12, v14
	v_and_b32_e32 v12, 0x7fffffff, v2
	v_fma_f32 v5, -v13, v9, v5
	v_div_scale_f32 v13, s[0:1], v0, v0, v12
	v_rcp_f32_e32 v15, v13
	v_div_fmas_f32 v5, v5, v14, v9
	v_div_fixup_f32 v5, v5, v6, |v8|
	v_and_b32_e32 v6, 0x7fffffff, v3
	v_fma_f32 v8, -v13, v15, 1.0
	v_fmac_f32_e32 v15, v8, v15
	v_div_scale_f32 v8, vcc, v12, v0, v12
	v_mul_f32_e32 v9, v8, v15
	v_fma_f32 v12, -v13, v9, v8
	v_fmac_f32_e32 v9, v12, v15
	v_div_scale_f32 v12, s[0:1], v1, v1, v6
	v_fma_f32 v8, -v13, v9, v8
	v_rcp_f32_e32 v13, v12
	v_div_fmas_f32 v8, v8, v15, v9
	v_div_fixup_f32 v0, v8, v0, |v2|
	s_brev_b32 s6, 60
	v_fma_f32 v2, -v12, v13, 1.0
	v_fmac_f32_e32 v13, v2, v13
	v_div_scale_f32 v2, vcc, v6, v1, v6
	v_mul_f32_e32 v6, v2, v13
	v_fma_f32 v8, -v12, v6, v2
	v_fmac_f32_e32 v6, v8, v13
	v_fma_f32 v2, -v12, v6, v2
	v_div_fmas_f32 v2, v2, v13, v6
	v_cmp_nge_f32_e64 s[2:3], s6, v5
	v_div_fixup_f32 v1, v2, v1, |v3|
	v_cmp_ge_f32_e64 s[0:1], s6, v0
	v_cndmask_b32_e64 v0, 0, 1, s[2:3]
	v_cmp_nge_f32_e64 s[2:3], s6, v4
	v_cmp_ge_f32_e32 vcc, s6, v1
	v_lshlrev_b16_e32 v0, 1, v0
	v_cndmask_b32_e64 v1, 0, 1, s[2:3]
	v_cmp_nge_f32_e64 s[2:3], s6, v10
	v_bitop3_b16 v0, v1, 3, v0 bitop3:0xc8
	s_and_b64 s[0:1], s[0:1], vcc
	v_cndmask_b32_e64 v1, 0, 1, s[2:3]
	v_cmp_nge_f32_e64 s[2:3], s6, v7
	v_lshlrev_b16_e32 v1, 3, v1
	v_mov_b32_e32 v11, 0
	v_cndmask_b32_e64 v2, 0, 1, s[2:3]
	v_lshlrev_b16_e32 v2, 2, v2
	v_or_b32_e32 v1, v1, v2
	v_bitop3_b16 v0, v0, 15, v1 bitop3:0xc8
	v_cmp_eq_u16_e64 s[2:3], 0, v0
	s_and_b64 s[0:1], s[0:1], s[2:3]
	v_cndmask_b32_e64 v0, 0, 1, s[0:1]
	s_waitcnt lgkmcnt(0)
	global_store_byte v11, v0, s[4:5]
.LBB0_38:
	s_endpgm
	.section	.rodata,"a",@progbits
	.p2align	6, 0x0
	.amdhsa_kernel _Z17testOperationsGPUPfS_Pb
		.amdhsa_group_segment_fixed_size 0
		.amdhsa_private_segment_fixed_size 0
		.amdhsa_kernarg_size 24
		.amdhsa_user_sgpr_count 2
		.amdhsa_user_sgpr_dispatch_ptr 0
		.amdhsa_user_sgpr_queue_ptr 0
		.amdhsa_user_sgpr_kernarg_segment_ptr 1
		.amdhsa_user_sgpr_dispatch_id 0
		.amdhsa_user_sgpr_kernarg_preload_length 0
		.amdhsa_user_sgpr_kernarg_preload_offset 0
		.amdhsa_user_sgpr_private_segment_size 0
		.amdhsa_uses_dynamic_stack 0
		.amdhsa_enable_private_segment 0
		.amdhsa_system_sgpr_workgroup_id_x 1
		.amdhsa_system_sgpr_workgroup_id_y 0
		.amdhsa_system_sgpr_workgroup_id_z 0
		.amdhsa_system_sgpr_workgroup_info 0
		.amdhsa_system_vgpr_workitem_id 0
		.amdhsa_next_free_vgpr 21
		.amdhsa_next_free_sgpr 8
		.amdhsa_accum_offset 24
		.amdhsa_reserve_vcc 1
		.amdhsa_float_round_mode_32 0
		.amdhsa_float_round_mode_16_64 0
		.amdhsa_float_denorm_mode_32 3
		.amdhsa_float_denorm_mode_16_64 3
		.amdhsa_dx10_clamp 1
		.amdhsa_ieee_mode 1
		.amdhsa_fp16_overflow 0
		.amdhsa_tg_split 0
		.amdhsa_exception_fp_ieee_invalid_op 0
		.amdhsa_exception_fp_denorm_src 0
		.amdhsa_exception_fp_ieee_div_zero 0
		.amdhsa_exception_fp_ieee_overflow 0
		.amdhsa_exception_fp_ieee_underflow 0
		.amdhsa_exception_fp_ieee_inexact 0
		.amdhsa_exception_int_div_zero 0
	.end_amdhsa_kernel
	.text
.Lfunc_end0:
	.size	_Z17testOperationsGPUPfS_Pb, .Lfunc_end0-_Z17testOperationsGPUPfS_Pb
                                        ; -- End function
	.set _Z17testOperationsGPUPfS_Pb.num_vgpr, 21
	.set _Z17testOperationsGPUPfS_Pb.num_agpr, 0
	.set _Z17testOperationsGPUPfS_Pb.numbered_sgpr, 8
	.set _Z17testOperationsGPUPfS_Pb.num_named_barrier, 0
	.set _Z17testOperationsGPUPfS_Pb.private_seg_size, 0
	.set _Z17testOperationsGPUPfS_Pb.uses_vcc, 1
	.set _Z17testOperationsGPUPfS_Pb.uses_flat_scratch, 0
	.set _Z17testOperationsGPUPfS_Pb.has_dyn_sized_stack, 0
	.set _Z17testOperationsGPUPfS_Pb.has_recursion, 0
	.set _Z17testOperationsGPUPfS_Pb.has_indirect_call, 0
	.section	.AMDGPU.csdata,"",@progbits
; Kernel info:
; codeLenInByte = 1664
; TotalNumSgprs: 14
; NumVgprs: 21
; NumAgprs: 0
; TotalNumVgprs: 21
; ScratchSize: 0
; MemoryBound: 0
; FloatMode: 240
; IeeeMode: 1
; LDSByteSize: 0 bytes/workgroup (compile time only)
; SGPRBlocks: 1
; VGPRBlocks: 2
; NumSGPRsForWavesPerEU: 14
; NumVGPRsForWavesPerEU: 21
; AccumOffset: 24
; Occupancy: 8
; WaveLimiterHint : 0
; COMPUTE_PGM_RSRC2:SCRATCH_EN: 0
; COMPUTE_PGM_RSRC2:USER_SGPR: 2
; COMPUTE_PGM_RSRC2:TRAP_HANDLER: 0
; COMPUTE_PGM_RSRC2:TGID_X_EN: 1
; COMPUTE_PGM_RSRC2:TGID_Y_EN: 0
; COMPUTE_PGM_RSRC2:TGID_Z_EN: 0
; COMPUTE_PGM_RSRC2:TIDIG_COMP_CNT: 0
; COMPUTE_PGM_RSRC3_GFX90A:ACCUM_OFFSET: 5
; COMPUTE_PGM_RSRC3_GFX90A:TG_SPLIT: 0
	.text
	.p2alignl 6, 3212836864
	.fill 256, 4, 3212836864
	.section	.AMDGPU.gpr_maximums,"",@progbits
	.set amdgpu.max_num_vgpr, 0
	.set amdgpu.max_num_agpr, 0
	.set amdgpu.max_num_sgpr, 0
	.text
	.type	__hip_cuid_359939ab9130ab18,@object ; @__hip_cuid_359939ab9130ab18
	.section	.bss,"aw",@nobits
	.globl	__hip_cuid_359939ab9130ab18
__hip_cuid_359939ab9130ab18:
	.byte	0                               ; 0x0
	.size	__hip_cuid_359939ab9130ab18, 1

	.ident	"AMD clang version 22.0.0git (https://github.com/RadeonOpenCompute/llvm-project roc-7.2.4 26084 f58b06dce1f9c15707c5f808fd002e18c2accf7e)"
	.section	".note.GNU-stack","",@progbits
	.addrsig
	.addrsig_sym __hip_cuid_359939ab9130ab18
	.amdgpu_metadata
---
amdhsa.kernels:
  - .agpr_count:     0
    .args:
      - .address_space:  global
        .offset:         0
        .size:           8
        .value_kind:     global_buffer
      - .address_space:  global
        .offset:         8
        .size:           8
        .value_kind:     global_buffer
      - .address_space:  global
        .offset:         16
        .size:           8
        .value_kind:     global_buffer
    .group_segment_fixed_size: 0
    .kernarg_segment_align: 8
    .kernarg_segment_size: 24
    .language:       OpenCL C
    .language_version:
      - 2
      - 0
    .max_flat_workgroup_size: 1024
    .name:           _Z17testOperationsGPUPfS_Pb
    .private_segment_fixed_size: 0
    .sgpr_count:     14
    .sgpr_spill_count: 0
    .symbol:         _Z17testOperationsGPUPfS_Pb.kd
    .uniform_work_group_size: 1
    .uses_dynamic_stack: false
    .vgpr_count:     21
    .vgpr_spill_count: 0
    .wavefront_size: 64
amdhsa.target:   amdgcn-amd-amdhsa--gfx950
amdhsa.version:
  - 1
  - 2
...

	.end_amdgpu_metadata
